;; amdgpu-corpus repo=ROCm/rocFFT kind=compiled arch=gfx1201 opt=O3
	.text
	.amdgcn_target "amdgcn-amd-amdhsa--gfx1201"
	.amdhsa_code_object_version 6
	.protected	bluestein_single_fwd_len88_dim1_dp_op_CI_CI ; -- Begin function bluestein_single_fwd_len88_dim1_dp_op_CI_CI
	.globl	bluestein_single_fwd_len88_dim1_dp_op_CI_CI
	.p2align	8
	.type	bluestein_single_fwd_len88_dim1_dp_op_CI_CI,@function
bluestein_single_fwd_len88_dim1_dp_op_CI_CI: ; @bluestein_single_fwd_len88_dim1_dp_op_CI_CI
; %bb.0:
	s_load_b128 s[8:11], s[0:1], 0x28
	v_mul_u32_u24_e32 v1, 0x1746, v0
	s_mov_b32 s2, exec_lo
	s_delay_alu instid0(VALU_DEP_1) | instskip(NEXT) | instid1(VALU_DEP_1)
	v_lshrrev_b32_e32 v1, 16, v1
	v_mad_co_u64_u32 v[72:73], null, ttmp9, 11, v[1:2]
	v_mov_b32_e32 v73, 0
	s_wait_kmcnt 0x0
	s_delay_alu instid0(VALU_DEP_1)
	v_cmpx_gt_u64_e64 s[8:9], v[72:73]
	s_cbranch_execz .LBB0_15
; %bb.1:
	v_mul_hi_u32 v2, 0xba2e8ba3, v72
	v_mul_lo_u16 v1, v1, 11
	s_clause 0x1
	s_load_b64 s[12:13], s[0:1], 0x0
	s_load_b64 s[8:9], s[0:1], 0x38
	s_delay_alu instid0(VALU_DEP_1) | instskip(NEXT) | instid1(VALU_DEP_3)
	v_sub_nc_u16 v0, v0, v1
	v_lshrrev_b32_e32 v2, 3, v2
	s_delay_alu instid0(VALU_DEP_2) | instskip(SKIP_1) | instid1(VALU_DEP_3)
	v_and_b32_e32 v157, 0xffff, v0
	v_cmp_gt_u16_e32 vcc_lo, 8, v0
	v_mul_lo_u32 v2, v2, 11
	s_delay_alu instid0(VALU_DEP_3)
	v_lshlrev_b32_e32 v168, 4, v157
	v_or_b32_e32 v158, 8, v157
	v_or_b32_e32 v159, 16, v157
	;; [unrolled: 1-line block ×4, first 2 shown]
	v_sub_nc_u32_e32 v1, v72, v2
	v_or_b32_e32 v162, 40, v157
	v_or_b32_e32 v163, 48, v157
	;; [unrolled: 1-line block ×4, first 2 shown]
	v_mul_u32_u24_e32 v172, 0x58, v1
	v_or_b32_e32 v166, 0x48, v157
	v_or_b32_e32 v167, 0x50, v157
	s_delay_alu instid0(VALU_DEP_3) | instskip(NEXT) | instid1(VALU_DEP_1)
	v_or_b32_e32 v0, v172, v157
	v_lshlrev_b32_e32 v169, 4, v0
	s_and_saveexec_b32 s3, vcc_lo
	s_cbranch_execz .LBB0_3
; %bb.2:
	s_load_b64 s[4:5], s[0:1], 0x18
	s_wait_kmcnt 0x0
	s_load_b128 s[4:7], s[4:5], 0x0
	s_clause 0x3
	global_load_b128 v[0:3], v168, s[12:13]
	global_load_b128 v[4:7], v168, s[12:13] offset:128
	global_load_b128 v[8:11], v168, s[12:13] offset:256
	global_load_b128 v[12:15], v168, s[12:13] offset:384
	s_wait_kmcnt 0x0
	v_mad_co_u64_u32 v[16:17], null, s6, v72, 0
	v_mad_co_u64_u32 v[18:19], null, s4, v157, 0
	;; [unrolled: 1-line block ×5, first 2 shown]
	s_delay_alu instid0(VALU_DEP_4)
	v_mad_co_u64_u32 v[29:30], null, s7, v72, v[17:18]
	v_mad_co_u64_u32 v[24:25], null, s4, v160, 0
	;; [unrolled: 1-line block ×5, first 2 shown]
	v_dual_mov_b32 v28, v33 :: v_dual_mov_b32 v17, v29
	v_mad_co_u64_u32 v[35:36], null, s5, v158, v[21:22]
	v_mad_co_u64_u32 v[36:37], null, s5, v159, v[23:24]
	v_dual_mov_b32 v34, v49 :: v_dual_mov_b32 v19, v30
	s_delay_alu instid0(VALU_DEP_4)
	v_lshlrev_b64_e32 v[16:17], 4, v[16:17]
	v_mad_co_u64_u32 v[37:38], null, s5, v160, v[25:26]
	v_mad_co_u64_u32 v[50:51], null, s4, v164, 0
	;; [unrolled: 1-line block ×3, first 2 shown]
	v_mov_b32_e32 v21, v35
	v_lshlrev_b64_e32 v[18:19], 4, v[18:19]
	v_add_co_u32 v75, s2, s10, v16
	v_mad_co_u64_u32 v[56:57], null, s4, v165, 0
	v_mov_b32_e32 v23, v36
	v_lshlrev_b64_e32 v[20:21], 4, v[20:21]
	v_add_co_ci_u32_e64 v76, s2, s11, v17, s2
	v_mov_b32_e32 v25, v37
	v_mov_b32_e32 v27, v38
	v_lshlrev_b64_e32 v[22:23], 4, v[22:23]
	v_add_co_u32 v18, s2, v75, v18
	s_wait_alu 0xf1ff
	v_add_co_ci_u32_e64 v19, s2, v76, v19, s2
	v_lshlrev_b64_e32 v[16:17], 4, v[24:25]
	v_add_co_u32 v20, s2, v75, v20
	s_wait_alu 0xf1ff
	v_add_co_ci_u32_e64 v21, s2, v76, v21, s2
	;; [unrolled: 4-line block ×3, first 2 shown]
	v_mad_co_u64_u32 v[39:40], null, s5, v162, v[28:29]
	v_add_co_u32 v28, s2, v75, v16
	s_wait_alu 0xf1ff
	v_add_co_ci_u32_e64 v29, s2, v76, v17, s2
	v_mad_co_u64_u32 v[37:38], null, s5, v163, v[34:35]
	v_add_co_u32 v34, s2, v75, v35
	v_mad_co_u64_u32 v[64:65], null, s4, v166, 0
	s_wait_alu 0xf1ff
	v_add_co_ci_u32_e64 v35, s2, v76, v36, s2
	v_mov_b32_e32 v36, v51
	v_mad_co_u64_u32 v[68:69], null, s4, v167, 0
	v_mov_b32_e32 v33, v39
	v_mov_b32_e32 v53, v65
	s_delay_alu instid0(VALU_DEP_4) | instskip(SKIP_1) | instid1(VALU_DEP_4)
	v_mad_co_u64_u32 v[51:52], null, s5, v164, v[36:37]
	v_dual_mov_b32 v52, v57 :: v_dual_mov_b32 v49, v37
	v_lshlrev_b64_e32 v[32:33], 4, v[32:33]
	s_clause 0x3
	global_load_b128 v[16:19], v[18:19], off
	global_load_b128 v[20:23], v[20:21], off
	;; [unrolled: 1-line block ×4, first 2 shown]
	v_mad_co_u64_u32 v[54:55], null, s5, v165, v[52:53]
	v_lshlrev_b64_e32 v[48:49], 4, v[48:49]
	v_add_co_u32 v38, s2, v75, v32
	v_lshlrev_b64_e32 v[50:51], 4, v[50:51]
	s_wait_alu 0xf1ff
	v_add_co_ci_u32_e64 v39, s2, v76, v33, s2
	v_mad_co_u64_u32 v[52:53], null, s5, v166, v[53:54]
	v_mov_b32_e32 v53, v69
	v_mov_b32_e32 v57, v54
	v_add_co_u32 v48, s2, v75, v48
	s_wait_alu 0xf1ff
	v_add_co_ci_u32_e64 v49, s2, v76, v49, s2
	v_mad_co_u64_u32 v[66:67], null, s5, v167, v[53:54]
	v_mov_b32_e32 v65, v52
	v_lshlrev_b64_e32 v[70:71], 4, v[56:57]
	v_add_co_u32 v58, s2, v75, v50
	s_wait_alu 0xf1ff
	v_add_co_ci_u32_e64 v59, s2, v76, v51, s2
	v_mov_b32_e32 v69, v66
	v_lshlrev_b64_e32 v[73:74], 4, v[64:65]
	v_add_co_u32 v70, s2, v75, v70
	s_wait_alu 0xf1ff
	v_add_co_ci_u32_e64 v71, s2, v76, v71, s2
	v_lshlrev_b64_e32 v[68:69], 4, v[68:69]
	s_delay_alu instid0(VALU_DEP_4)
	v_add_co_u32 v73, s2, v75, v73
	s_clause 0x1
	global_load_b128 v[32:35], v[34:35], off
	global_load_b128 v[36:39], v[38:39], off
	s_clause 0x1
	global_load_b128 v[40:43], v168, s[12:13] offset:512
	global_load_b128 v[44:47], v168, s[12:13] offset:640
	s_wait_alu 0xf1ff
	v_add_co_ci_u32_e64 v74, s2, v76, v74, s2
	s_clause 0x1
	global_load_b128 v[48:51], v[48:49], off
	global_load_b128 v[52:55], v[58:59], off
	s_clause 0x1
	global_load_b128 v[56:59], v168, s[12:13] offset:768
	global_load_b128 v[60:63], v168, s[12:13] offset:896
	v_add_co_u32 v85, s2, v75, v68
	global_load_b128 v[64:67], v168, s[12:13] offset:1024
	s_wait_alu 0xf1ff
	v_add_co_ci_u32_e64 v86, s2, v76, v69, s2
	s_clause 0x1
	global_load_b128 v[68:71], v[70:71], off
	global_load_b128 v[73:76], v[73:74], off
	s_clause 0x1
	global_load_b128 v[77:80], v168, s[12:13] offset:1152
	global_load_b128 v[81:84], v168, s[12:13] offset:1280
	global_load_b128 v[85:88], v[85:86], off
	s_wait_loadcnt 0x11
	v_mul_f64_e32 v[89:90], v[18:19], v[2:3]
	v_mul_f64_e32 v[2:3], v[16:17], v[2:3]
	s_wait_loadcnt 0x10
	v_mul_f64_e32 v[91:92], v[22:23], v[6:7]
	v_mul_f64_e32 v[6:7], v[20:21], v[6:7]
	;; [unrolled: 3-line block ×11, first 2 shown]
	v_fma_f64 v[14:15], v[16:17], v[0:1], v[89:90]
	v_fma_f64 v[16:17], v[18:19], v[0:1], -v[2:3]
	v_fma_f64 v[0:1], v[20:21], v[4:5], v[91:92]
	v_fma_f64 v[2:3], v[22:23], v[4:5], -v[6:7]
	;; [unrolled: 2-line block ×4, first 2 shown]
	v_lshl_add_u32 v12, v172, 4, v168
	v_fma_f64 v[18:19], v[32:33], v[40:41], v[99:100]
	v_fma_f64 v[20:21], v[34:35], v[40:41], -v[42:43]
	v_fma_f64 v[22:23], v[36:37], v[44:45], v[101:102]
	v_fma_f64 v[24:25], v[38:39], v[44:45], -v[46:47]
	;; [unrolled: 2-line block ×7, first 2 shown]
	ds_store_b128 v169, v[14:17]
	ds_store_b128 v12, v[0:3] offset:128
	ds_store_b128 v12, v[4:7] offset:256
	;; [unrolled: 1-line block ×10, first 2 shown]
.LBB0_3:
	s_or_b32 exec_lo, exec_lo, s3
	s_load_b64 s[2:3], s[0:1], 0x20
	v_lshlrev_b32_e32 v170, 4, v172
	global_wb scope:SCOPE_SE
	s_wait_dscnt 0x0
	s_wait_kmcnt 0x0
	s_barrier_signal -1
	s_barrier_wait -1
	global_inv scope:SCOPE_SE
                                        ; implicit-def: $vgpr20_vgpr21
                                        ; implicit-def: $vgpr40_vgpr41
                                        ; implicit-def: $vgpr36_vgpr37
                                        ; implicit-def: $vgpr28_vgpr29
                                        ; implicit-def: $vgpr24_vgpr25
                                        ; implicit-def: $vgpr16_vgpr17
                                        ; implicit-def: $vgpr12_vgpr13
                                        ; implicit-def: $vgpr32_vgpr33
                                        ; implicit-def: $vgpr48_vgpr49
                                        ; implicit-def: $vgpr52_vgpr53
                                        ; implicit-def: $vgpr44_vgpr45
	s_and_saveexec_b32 s4, vcc_lo
	s_cbranch_execz .LBB0_5
; %bb.4:
	v_lshl_add_u32 v0, v157, 4, v170
	ds_load_b128 v[20:23], v169
	ds_load_b128 v[44:47], v0 offset:128
	ds_load_b128 v[40:43], v0 offset:256
	ds_load_b128 v[52:55], v0 offset:384
	ds_load_b128 v[48:51], v0 offset:512
	ds_load_b128 v[36:39], v0 offset:640
	ds_load_b128 v[32:35], v0 offset:768
	ds_load_b128 v[28:31], v0 offset:896
	ds_load_b128 v[24:27], v0 offset:1024
	ds_load_b128 v[16:19], v0 offset:1152
	ds_load_b128 v[12:15], v0 offset:1280
.LBB0_5:
	s_wait_alu 0xfffe
	s_or_b32 exec_lo, exec_lo, s4
	s_wait_dscnt 0x0
	v_add_f64_e64 v[60:61], v[46:47], -v[14:15]
	v_add_f64_e64 v[58:59], v[44:45], -v[12:13]
	s_mov_b32 s16, 0xf8bb580b
	s_mov_b32 s4, 0x8eee2c13
	;; [unrolled: 1-line block ×6, first 2 shown]
	v_add_f64_e32 v[56:57], v[12:13], v[44:45]
	v_add_f64_e32 v[62:63], v[14:15], v[46:47]
	v_add_f64_e64 v[87:88], v[42:43], -v[18:19]
	v_add_f64_e64 v[64:65], v[40:41], -v[16:17]
	s_mov_b32 s18, 0x8764f0ba
	s_mov_b32 s10, 0xd9c712b6
	;; [unrolled: 1-line block ×10, first 2 shown]
	v_add_f64_e32 v[66:67], v[40:41], v[16:17]
	v_add_f64_e32 v[95:96], v[42:43], v[18:19]
	v_add_f64_e64 v[115:116], v[54:55], -v[26:27]
	v_add_f64_e64 v[70:71], v[52:53], -v[24:25]
	s_mov_b32 s26, 0x7f775887
	s_mov_b32 s24, 0x9bcd5057
	;; [unrolled: 1-line block ×5, first 2 shown]
	s_wait_alu 0xfffe
	s_mov_b32 s20, s4
	v_add_f64_e32 v[85:86], v[24:25], v[52:53]
	v_add_f64_e32 v[151:152], v[26:27], v[54:55]
	v_add_f64_e64 v[75:76], v[48:49], -v[28:29]
	v_add_f64_e64 v[129:130], v[50:51], -v[30:31]
	s_mov_b32 s31, 0x3fefac9e
	s_mov_b32 s30, s6
	v_mul_f64_e32 v[68:69], s[16:17], v[60:61]
	v_mul_f64_e32 v[73:74], s[16:17], v[58:59]
	;; [unrolled: 1-line block ×6, first 2 shown]
	v_add_f64_e32 v[91:92], v[28:29], v[48:49]
	v_add_f64_e32 v[153:154], v[30:31], v[50:51]
	v_add_f64_e64 v[89:90], v[36:37], -v[32:33]
	v_add_f64_e64 v[145:146], v[38:39], -v[34:35]
	v_mul_f64_e32 v[93:94], s[4:5], v[87:88]
	v_mul_f64_e32 v[97:98], s[4:5], v[64:65]
	;; [unrolled: 1-line block ×6, first 2 shown]
	s_mov_b32 s35, 0xbfd207e7
	s_mov_b32 s37, 0x3fe14ced
	;; [unrolled: 1-line block ×4, first 2 shown]
	v_add_f64_e32 v[155:156], v[38:39], v[34:35]
	s_load_b64 s[0:1], s[0:1], 0x8
	v_mul_lo_u16 v171, v157, 11
	global_wb scope:SCOPE_SE
	v_mul_f64_e32 v[101:102], s[6:7], v[115:116]
	v_mul_f64_e32 v[105:106], s[6:7], v[70:71]
	;; [unrolled: 1-line block ×6, first 2 shown]
	s_wait_kmcnt 0x0
	s_barrier_signal -1
	s_barrier_wait -1
	global_inv scope:SCOPE_SE
	v_mul_f64_e32 v[125:126], s[28:29], v[75:76]
	v_mul_f64_e32 v[121:122], s[28:29], v[129:130]
	v_mul_f64_e32 v[131:132], s[30:31], v[129:130]
	v_mul_f64_e32 v[135:136], s[30:31], v[75:76]
	v_fma_f64 v[0:1], v[56:57], s[18:19], v[68:69]
	v_fma_f64 v[2:3], v[62:63], s[18:19], -v[73:74]
	v_fma_f64 v[4:5], v[56:57], s[10:11], v[77:78]
	v_fma_f64 v[6:7], v[62:63], s[10:11], -v[81:82]
	;; [unrolled: 2-line block ×3, first 2 shown]
	v_mul_f64_e32 v[139:140], s[16:17], v[129:130]
	v_mul_f64_e32 v[143:144], s[16:17], v[75:76]
	;; [unrolled: 1-line block ×3, first 2 shown]
	v_fma_f64 v[107:108], v[66:67], s[10:11], v[93:94]
	v_fma_f64 v[127:128], v[95:96], s[10:11], -v[97:98]
	v_fma_f64 v[133:134], v[66:67], s[26:27], v[99:100]
	v_fma_f64 v[137:138], v[95:96], s[26:27], -v[103:104]
	;; [unrolled: 2-line block ×6, first 2 shown]
	v_fma_f64 v[187:188], v[153:154], s[26:27], -v[125:126]
	v_fma_f64 v[185:186], v[91:92], s[26:27], v[121:122]
	v_fma_f64 v[189:190], v[91:92], s[14:15], v[131:132]
	v_fma_f64 v[191:192], v[153:154], s[14:15], -v[135:136]
	v_add_f64_e32 v[0:1], v[20:21], v[0:1]
	v_add_f64_e32 v[2:3], v[22:23], v[2:3]
	;; [unrolled: 1-line block ×6, first 2 shown]
	v_fma_f64 v[193:194], v[91:92], s[18:19], v[139:140]
	v_fma_f64 v[195:196], v[153:154], s[18:19], -v[143:144]
	v_add_f64_e32 v[0:1], v[107:108], v[0:1]
	v_add_f64_e32 v[2:3], v[127:128], v[2:3]
	;; [unrolled: 1-line block ×7, first 2 shown]
	v_mul_f64_e32 v[127:128], s[34:35], v[145:146]
	v_mul_f64_e32 v[133:134], s[34:35], v[89:90]
	;; [unrolled: 1-line block ×5, first 2 shown]
	v_add_f64_e32 v[0:1], v[173:174], v[0:1]
	v_add_f64_e32 v[2:3], v[175:176], v[2:3]
	;; [unrolled: 1-line block ×6, first 2 shown]
	v_fma_f64 v[183:184], v[155:156], s[26:27], -v[149:150]
	v_fma_f64 v[173:174], v[107:108], s[24:25], v[127:128]
	v_fma_f64 v[175:176], v[155:156], s[24:25], -v[133:134]
	v_fma_f64 v[177:178], v[107:108], s[18:19], v[137:138]
	;; [unrolled: 2-line block ×3, first 2 shown]
	v_add_f64_e32 v[0:1], v[185:186], v[0:1]
	v_add_f64_e32 v[2:3], v[187:188], v[2:3]
	;; [unrolled: 1-line block ×12, first 2 shown]
	s_and_saveexec_b32 s33, vcc_lo
	s_cbranch_execz .LBB0_7
; %bb.6:
	v_add_f64_e32 v[46:47], v[22:23], v[46:47]
	v_add_f64_e32 v[44:45], v[20:21], v[44:45]
	v_mul_f64_e32 v[173:174], s[10:11], v[62:63]
	v_mul_f64_e32 v[175:176], s[10:11], v[56:57]
	;; [unrolled: 1-line block ×3, first 2 shown]
	s_mov_b32 s39, 0x3fe82f19
	s_mov_b32 s38, s28
	v_mul_f64_e32 v[179:180], s[10:11], v[95:96]
	v_mul_f64_e32 v[181:182], s[26:27], v[66:67]
	;; [unrolled: 1-line block ×15, first 2 shown]
	v_add_f64_e32 v[42:43], v[42:43], v[46:47]
	v_add_f64_e32 v[40:41], v[40:41], v[44:45]
	v_mul_f64_e32 v[44:45], s[24:25], v[62:63]
	v_mul_f64_e32 v[46:47], s[34:35], v[60:61]
	;; [unrolled: 1-line block ×3, first 2 shown]
	v_add_f64_e64 v[77:78], v[175:176], -v[77:78]
	v_add_f64_e64 v[79:80], v[177:178], -v[79:80]
	v_add_f64_e32 v[97:98], v[97:98], v[179:180]
	v_add_f64_e64 v[99:100], v[181:182], -v[99:100]
	v_add_f64_e32 v[103:104], v[103:104], v[183:184]
	v_fma_f64 v[177:178], v[64:65], s[36:37], v[185:186]
	v_fma_f64 v[175:176], v[66:67], s[18:19], v[187:188]
	v_mul_f64_e32 v[179:180], s[10:11], v[153:154]
	v_mul_f64_e32 v[181:182], s[20:21], v[129:130]
	v_fma_f64 v[211:212], v[66:67], s[14:15], v[87:88]
	v_mul_f64_e32 v[129:130], s[34:35], v[129:130]
	v_add_f64_e64 v[111:112], v[197:198], -v[111:112]
	v_add_f64_e32 v[117:118], v[117:118], v[199:200]
	v_add_f64_e32 v[105:106], v[105:106], v[195:196]
	v_add_f64_e64 v[119:120], v[201:202], -v[119:120]
	v_add_f64_e64 v[101:102], v[193:194], -v[101:102]
	v_add_f64_e32 v[42:43], v[54:55], v[42:43]
	v_add_f64_e32 v[40:41], v[52:53], v[40:41]
	v_mul_f64_e32 v[52:53], s[26:27], v[62:63]
	v_mul_f64_e32 v[54:55], s[14:15], v[62:63]
	;; [unrolled: 1-line block ×3, first 2 shown]
	v_fma_f64 v[205:206], v[58:59], s[22:23], v[44:45]
	v_fma_f64 v[44:45], v[58:59], s[34:35], v[44:45]
	;; [unrolled: 1-line block ×3, first 2 shown]
	v_fma_f64 v[46:47], v[56:57], s[24:25], -v[46:47]
	v_add_f64_e32 v[77:78], v[20:21], v[77:78]
	v_add_f64_e32 v[79:80], v[20:21], v[79:80]
	;; [unrolled: 1-line block ×4, first 2 shown]
	v_mul_f64_e32 v[48:49], s[18:19], v[56:57]
	v_mul_f64_e32 v[50:51], s[10:11], v[66:67]
	v_fma_f64 v[209:210], v[58:59], s[38:39], v[52:53]
	v_fma_f64 v[52:53], v[58:59], s[28:29], v[52:53]
	v_add_f64_e32 v[54:55], v[83:84], v[54:55]
	v_add_f64_e32 v[58:59], v[81:82], v[173:174]
	v_fma_f64 v[81:82], v[56:57], s[26:27], -v[60:61]
	v_fma_f64 v[56:57], v[56:57], s[26:27], v[60:61]
	v_add_f64_e32 v[60:61], v[73:74], v[62:63]
	v_mul_f64_e32 v[73:74], s[26:27], v[151:152]
	v_mul_f64_e32 v[83:84], s[28:29], v[115:116]
	;; [unrolled: 1-line block ×3, first 2 shown]
	v_fma_f64 v[173:174], v[64:65], s[16:17], v[185:186]
	v_fma_f64 v[185:186], v[66:67], s[18:19], -v[187:188]
	v_fma_f64 v[187:188], v[64:65], s[6:7], v[95:96]
	v_fma_f64 v[64:65], v[64:65], s[30:31], v[95:96]
	v_fma_f64 v[66:67], v[66:67], s[14:15], -v[87:88]
	v_add_f64_e32 v[87:88], v[113:114], v[191:192]
	v_mul_f64_e32 v[151:152], s[18:19], v[151:152]
	v_add_f64_e64 v[95:96], v[189:190], -v[109:110]
	v_add_f64_e32 v[109:110], v[20:21], v[207:208]
	v_add_f64_e32 v[44:45], v[22:23], v[44:45]
	;; [unrolled: 1-line block ×3, first 2 shown]
	v_mul_f64_e32 v[62:63], s[14:15], v[91:92]
	v_add_f64_e32 v[38:39], v[38:39], v[42:43]
	v_add_f64_e32 v[36:37], v[36:37], v[40:41]
	v_add_f64_e64 v[40:41], v[48:49], -v[68:69]
	v_add_f64_e64 v[50:51], v[50:51], -v[93:94]
	v_add_f64_e32 v[93:94], v[22:23], v[205:206]
	v_add_f64_e32 v[52:53], v[22:23], v[52:53]
	;; [unrolled: 1-line block ×8, first 2 shown]
	v_mul_f64_e32 v[68:69], s[14:15], v[153:154]
	v_fma_f64 v[183:184], v[70:71], s[38:39], v[73:74]
	v_fma_f64 v[189:190], v[85:86], s[26:27], v[83:84]
	v_fma_f64 v[83:84], v[85:86], s[26:27], -v[83:84]
	v_fma_f64 v[205:206], v[85:86], s[18:19], v[115:116]
	v_fma_f64 v[85:86], v[85:86], s[18:19], -v[115:116]
	v_add_f64_e32 v[115:116], v[123:124], v[203:204]
	v_fma_f64 v[73:74], v[70:71], s[28:29], v[73:74]
	v_fma_f64 v[191:192], v[70:71], s[36:37], v[151:152]
	;; [unrolled: 1-line block ×3, first 2 shown]
	v_mul_f64_e32 v[48:49], s[26:27], v[153:154]
	v_add_f64_e32 v[109:110], v[175:176], v[109:110]
	v_add_f64_e32 v[44:45], v[177:178], v[44:45]
	;; [unrolled: 1-line block ×3, first 2 shown]
	v_mul_f64_e32 v[42:43], s[26:27], v[91:92]
	v_add_f64_e64 v[62:63], v[62:63], -v[131:132]
	v_mul_f64_e32 v[60:61], s[24:25], v[155:156]
	v_fma_f64 v[123:124], v[75:76], s[20:21], v[179:180]
	v_add_f64_e32 v[34:35], v[34:35], v[38:39]
	v_add_f64_e32 v[32:33], v[32:33], v[36:37]
	;; [unrolled: 1-line block ×3, first 2 shown]
	v_mul_f64_e32 v[38:39], s[18:19], v[153:154]
	v_add_f64_e32 v[93:94], v[173:174], v[93:94]
	v_add_f64_e32 v[52:53], v[64:65], v[52:53]
	;; [unrolled: 1-line block ×5, first 2 shown]
	v_mul_f64_e32 v[36:37], s[18:19], v[91:92]
	v_add_f64_e32 v[77:78], v[95:96], v[79:80]
	v_mul_f64_e32 v[153:154], s[24:25], v[153:154]
	v_add_f64_e32 v[66:67], v[66:67], v[81:82]
	v_add_f64_e32 v[113:114], v[187:188], v[113:114]
	;; [unrolled: 1-line block ×4, first 2 shown]
	v_mul_f64_e32 v[79:80], s[26:27], v[155:156]
	v_mul_f64_e32 v[81:82], s[14:15], v[155:156]
	v_mul_f64_e32 v[87:88], s[6:7], v[145:146]
	v_mul_f64_e32 v[95:96], s[10:11], v[155:156]
	v_fma_f64 v[99:100], v[75:76], s[4:5], v[179:180]
	v_add_f64_e32 v[68:69], v[135:136], v[68:69]
	v_mul_f64_e32 v[97:98], s[20:21], v[145:146]
	v_fma_f64 v[103:104], v[91:92], s[10:11], v[181:182]
	v_fma_f64 v[145:146], v[91:92], s[10:11], -v[181:182]
	v_add_f64_e32 v[109:110], v[189:190], v[109:110]
	v_add_f64_e32 v[44:45], v[73:74], v[44:45]
	;; [unrolled: 1-line block ×3, first 2 shown]
	v_mul_f64_e32 v[40:41], s[24:25], v[107:108]
	v_add_f64_e32 v[48:49], v[125:126], v[48:49]
	v_add_f64_e64 v[42:43], v[42:43], -v[121:122]
	v_add_f64_e32 v[60:61], v[133:134], v[60:61]
	v_add_f64_e32 v[30:31], v[30:31], v[34:35]
	;; [unrolled: 1-line block ×4, first 2 shown]
	v_mul_f64_e32 v[32:33], s[18:19], v[107:108]
	v_mul_f64_e32 v[34:35], s[18:19], v[155:156]
	v_add_f64_e32 v[38:39], v[143:144], v[38:39]
	v_add_f64_e32 v[93:94], v[183:184], v[93:94]
	;; [unrolled: 1-line block ×5, first 2 shown]
	v_mul_f64_e32 v[50:51], s[26:27], v[107:108]
	v_add_f64_e64 v[36:37], v[36:37], -v[139:140]
	v_add_f64_e32 v[52:53], v[70:71], v[52:53]
	v_add_f64_e32 v[70:71], v[119:120], v[77:78]
	v_fma_f64 v[151:152], v[75:76], s[22:23], v[153:154]
	v_fma_f64 v[155:156], v[91:92], s[24:25], v[129:130]
	;; [unrolled: 1-line block ×3, first 2 shown]
	v_fma_f64 v[91:92], v[91:92], s[24:25], -v[129:130]
	v_add_f64_e32 v[66:67], v[85:86], v[66:67]
	v_add_f64_e32 v[73:74], v[191:192], v[113:114]
	;; [unrolled: 1-line block ×4, first 2 shown]
	v_fma_f64 v[77:78], v[89:90], s[6:7], v[81:82]
	v_fma_f64 v[83:84], v[89:90], s[4:5], v[95:96]
	v_add_f64_e32 v[79:80], v[149:150], v[79:80]
	v_fma_f64 v[85:86], v[107:108], s[10:11], v[97:98]
	v_add_f64_e32 v[44:45], v[123:124], v[44:45]
	v_add_f64_e32 v[46:47], v[145:146], v[46:47]
	v_add_f64_e64 v[40:41], v[40:41], -v[127:128]
	v_add_f64_e32 v[26:27], v[26:27], v[30:31]
	v_add_f64_e32 v[24:25], v[24:25], v[28:29]
	;; [unrolled: 1-line block ×3, first 2 shown]
	v_fma_f64 v[28:29], v[89:90], s[30:31], v[81:82]
	v_fma_f64 v[30:31], v[107:108], s[14:15], v[87:88]
	v_fma_f64 v[81:82], v[107:108], s[14:15], -v[87:88]
	v_fma_f64 v[87:88], v[89:90], s[20:21], v[95:96]
	v_add_f64_e32 v[95:96], v[141:142], v[34:35]
	v_add_f64_e64 v[32:33], v[32:33], -v[137:138]
	v_add_f64_e32 v[34:35], v[99:100], v[93:94]
	v_add_f64_e32 v[38:39], v[38:39], v[54:55]
	;; [unrolled: 1-line block ×4, first 2 shown]
	v_add_f64_e64 v[50:51], v[50:51], -v[147:148]
	v_add_f64_e32 v[62:63], v[36:37], v[70:71]
	v_fma_f64 v[89:90], v[107:108], s[10:11], -v[97:98]
	v_add_f64_e32 v[93:94], v[103:104], v[109:110]
	v_add_f64_e32 v[52:53], v[75:76], v[52:53]
	;; [unrolled: 1-line block ×7, first 2 shown]
	v_and_b32_e32 v44, 0xffff, v171
	s_delay_alu instid0(VALU_DEP_1)
	v_add_lshl_u32 v44, v172, v44, 4
	v_add_f64_e32 v[66:67], v[18:19], v[26:27]
	v_add_f64_e32 v[68:69], v[16:17], v[24:25]
	;; [unrolled: 1-line block ×18, first 2 shown]
	ds_store_b128 v44, v[8:11] offset:128
	ds_store_b128 v44, v[4:7] offset:144
	;; [unrolled: 1-line block ×8, first 2 shown]
	ds_store_b128 v44, v[12:15]
	ds_store_b128 v44, v[40:43] offset:16
	ds_store_b128 v44, v[0:3] offset:160
.LBB0_7:
	s_or_b32 exec_lo, exec_lo, s33
	v_mad_co_u64_u32 v[28:29], null, 0x70, v157, s[0:1]
	s_load_b128 s[0:3], s[2:3], 0x0
	global_wb scope:SCOPE_SE
	s_wait_dscnt 0x0
	s_wait_kmcnt 0x0
	s_barrier_signal -1
	s_barrier_wait -1
	global_inv scope:SCOPE_SE
	v_add_lshl_u32 v74, v172, v157, 4
	s_clause 0x6
	global_load_b128 v[20:23], v[28:29], off
	global_load_b128 v[16:19], v[28:29], off offset:16
	global_load_b128 v[12:15], v[28:29], off offset:48
	;; [unrolled: 1-line block ×6, first 2 shown]
	ds_load_b128 v[40:43], v74 offset:176
	ds_load_b128 v[44:47], v74 offset:352
	;; [unrolled: 1-line block ×7, first 2 shown]
	s_mov_b32 s4, 0x667f3bcd
	s_mov_b32 s5, 0xbfe6a09e
	;; [unrolled: 1-line block ×3, first 2 shown]
	s_wait_alu 0xfffe
	s_mov_b32 s6, s4
	v_lshl_add_u32 v73, v157, 4, v170
	s_wait_loadcnt_dscnt 0x606
	v_mul_f64_e32 v[68:69], v[42:43], v[22:23]
	v_mul_f64_e32 v[70:71], v[40:41], v[22:23]
	s_wait_loadcnt_dscnt 0x505
	v_mul_f64_e32 v[75:76], v[46:47], v[18:19]
	v_mul_f64_e32 v[77:78], v[44:45], v[18:19]
	;; [unrolled: 3-line block ×7, first 2 shown]
	v_fma_f64 v[68:69], v[40:41], v[20:21], -v[68:69]
	v_fma_f64 v[70:71], v[42:43], v[20:21], v[70:71]
	v_fma_f64 v[44:45], v[44:45], v[16:17], -v[75:76]
	v_fma_f64 v[46:47], v[46:47], v[16:17], v[77:78]
	;; [unrolled: 2-line block ×7, first 2 shown]
	ds_load_b128 v[40:43], v74
	s_wait_dscnt 0x0
	v_add_f64_e64 v[48:49], v[40:41], -v[48:49]
	v_add_f64_e64 v[50:51], v[42:43], -v[50:51]
	;; [unrolled: 1-line block ×8, first 2 shown]
	v_fma_f64 v[40:41], v[40:41], 2.0, -v[48:49]
	v_fma_f64 v[42:43], v[42:43], 2.0, -v[50:51]
	;; [unrolled: 1-line block ×6, first 2 shown]
	v_add_f64_e64 v[75:76], v[48:49], -v[54:55]
	v_add_f64_e32 v[77:78], v[50:51], v[52:53]
	v_fma_f64 v[52:53], v[60:61], 2.0, -v[64:65]
	v_fma_f64 v[54:55], v[62:63], 2.0, -v[66:67]
	v_add_f64_e64 v[60:61], v[56:57], -v[66:67]
	v_add_f64_e32 v[62:63], v[58:59], v[64:65]
	v_add_f64_e64 v[64:65], v[40:41], -v[44:45]
	v_add_f64_e64 v[66:67], v[42:43], -v[46:47]
	v_fma_f64 v[79:80], v[48:49], 2.0, -v[75:76]
	v_fma_f64 v[81:82], v[50:51], 2.0, -v[77:78]
	v_add_f64_e64 v[44:45], v[68:69], -v[52:53]
	v_add_f64_e64 v[46:47], v[70:71], -v[54:55]
	v_fma_f64 v[54:55], v[56:57], 2.0, -v[60:61]
	v_fma_f64 v[52:53], v[58:59], 2.0, -v[62:63]
	s_wait_alu 0xfffe
	v_fma_f64 v[56:57], v[60:61], s[6:7], v[75:76]
	v_fma_f64 v[58:59], v[62:63], s[6:7], v[77:78]
	v_fma_f64 v[40:41], v[40:41], 2.0, -v[64:65]
	v_fma_f64 v[42:43], v[42:43], 2.0, -v[66:67]
	;; [unrolled: 1-line block ×4, first 2 shown]
	v_fma_f64 v[83:84], v[54:55], s[4:5], v[79:80]
	v_fma_f64 v[85:86], v[52:53], s[4:5], v[81:82]
	v_add_f64_e64 v[48:49], v[64:65], -v[46:47]
	v_add_f64_e32 v[50:51], v[66:67], v[44:45]
	v_fma_f64 v[44:45], v[62:63], s[4:5], v[56:57]
	v_fma_f64 v[46:47], v[60:61], s[6:7], v[58:59]
	v_add_f64_e64 v[56:57], v[40:41], -v[68:69]
	v_add_f64_e64 v[58:59], v[42:43], -v[70:71]
	v_fma_f64 v[52:53], v[52:53], s[4:5], v[83:84]
	v_fma_f64 v[54:55], v[54:55], s[6:7], v[85:86]
	v_fma_f64 v[68:69], v[64:65], 2.0, -v[48:49]
	v_fma_f64 v[70:71], v[66:67], 2.0, -v[50:51]
	;; [unrolled: 1-line block ×8, first 2 shown]
	ds_store_b128 v73, v[48:51] offset:1056
	ds_store_b128 v73, v[44:47] offset:1232
	;; [unrolled: 1-line block ×6, first 2 shown]
	ds_store_b128 v73, v[40:43]
	ds_store_b128 v73, v[64:67] offset:176
	global_wb scope:SCOPE_SE
	s_wait_dscnt 0x0
	s_barrier_signal -1
	s_barrier_wait -1
	global_inv scope:SCOPE_SE
	s_and_saveexec_b32 s6, vcc_lo
	s_cbranch_execz .LBB0_9
; %bb.8:
	global_load_b128 v[75:78], v168, s[12:13] offset:1408
	s_add_nc_u64 s[4:5], s[12:13], 0x580
	s_clause 0x9
	global_load_b128 v[79:82], v168, s[4:5] offset:128
	global_load_b128 v[83:86], v168, s[4:5] offset:256
	;; [unrolled: 1-line block ×10, first 2 shown]
	ds_load_b128 v[119:122], v169
	s_wait_loadcnt_dscnt 0xa00
	v_mul_f64_e32 v[123:124], v[121:122], v[77:78]
	v_mul_f64_e32 v[77:78], v[119:120], v[77:78]
	s_delay_alu instid0(VALU_DEP_2) | instskip(NEXT) | instid1(VALU_DEP_2)
	v_fma_f64 v[119:120], v[119:120], v[75:76], -v[123:124]
	v_fma_f64 v[121:122], v[121:122], v[75:76], v[77:78]
	ds_store_b128 v169, v[119:122]
	ds_load_b128 v[75:78], v73 offset:128
	ds_load_b128 v[119:122], v73 offset:256
	;; [unrolled: 1-line block ×10, first 2 shown]
	s_wait_loadcnt_dscnt 0x909
	v_mul_f64_e32 v[155:156], v[77:78], v[81:82]
	v_mul_f64_e32 v[81:82], v[75:76], v[81:82]
	s_wait_loadcnt_dscnt 0x808
	v_mul_f64_e32 v[172:173], v[121:122], v[85:86]
	v_mul_f64_e32 v[85:86], v[119:120], v[85:86]
	;; [unrolled: 3-line block ×10, first 2 shown]
	v_fma_f64 v[75:76], v[75:76], v[79:80], -v[155:156]
	v_fma_f64 v[77:78], v[77:78], v[79:80], v[81:82]
	v_fma_f64 v[79:80], v[119:120], v[83:84], -v[172:173]
	v_fma_f64 v[81:82], v[121:122], v[83:84], v[85:86]
	;; [unrolled: 2-line block ×10, first 2 shown]
	ds_store_b128 v73, v[75:78] offset:128
	ds_store_b128 v73, v[79:82] offset:256
	;; [unrolled: 1-line block ×10, first 2 shown]
.LBB0_9:
	s_wait_alu 0xfffe
	s_or_b32 exec_lo, exec_lo, s6
	global_wb scope:SCOPE_SE
	s_wait_dscnt 0x0
	s_barrier_signal -1
	s_barrier_wait -1
	global_inv scope:SCOPE_SE
	s_and_saveexec_b32 s4, vcc_lo
	s_cbranch_execz .LBB0_11
; %bb.10:
	ds_load_b128 v[40:43], v169
	ds_load_b128 v[64:67], v73 offset:128
	ds_load_b128 v[68:71], v73 offset:256
	;; [unrolled: 1-line block ×10, first 2 shown]
.LBB0_11:
	s_wait_alu 0xfffe
	s_or_b32 exec_lo, exec_lo, s4
	global_wb scope:SCOPE_SE
	s_wait_dscnt 0x0
	s_barrier_signal -1
	s_barrier_wait -1
	global_inv scope:SCOPE_SE
	s_and_saveexec_b32 s18, vcc_lo
	s_cbranch_execz .LBB0_13
; %bb.12:
	v_add_f64_e32 v[75:76], v[42:43], v[66:67]
	v_add_f64_e32 v[77:78], v[40:41], v[64:65]
	v_add_f64_e64 v[91:92], v[64:65], -v[0:1]
	v_add_f64_e64 v[101:102], v[66:67], -v[2:3]
	;; [unrolled: 1-line block ×8, first 2 shown]
	v_add_f64_e32 v[103:104], v[10:11], v[62:63]
	v_add_f64_e32 v[109:110], v[8:9], v[60:61]
	s_mov_b32 s24, 0xbb3a28a1
	s_mov_b32 s28, 0xfd768dbf
	;; [unrolled: 1-line block ×6, first 2 shown]
	v_add_f64_e64 v[89:90], v[68:69], -v[4:5]
	v_add_f64_e64 v[99:100], v[70:71], -v[6:7]
	v_add_f64_e32 v[66:67], v[2:3], v[66:67]
	v_add_f64_e32 v[64:65], v[0:1], v[64:65]
	s_mov_b32 s20, 0x43842ef
	s_mov_b32 s26, 0xf8bb580b
	;; [unrolled: 1-line block ×5, first 2 shown]
	s_wait_alu 0xfffe
	s_mov_b32 s30, s26
	v_add_f64_e32 v[85:86], v[46:47], v[58:59]
	v_add_f64_e32 v[107:108], v[44:45], v[56:57]
	s_mov_b32 s14, 0x7f775887
	s_mov_b32 s6, 0x9bcd5057
	;; [unrolled: 1-line block ×8, first 2 shown]
	v_add_f64_e32 v[75:76], v[70:71], v[75:76]
	v_add_f64_e32 v[77:78], v[68:69], v[77:78]
	v_mul_f64_e32 v[119:120], s[28:29], v[91:92]
	v_mul_f64_e32 v[129:130], s[28:29], v[101:102]
	;; [unrolled: 1-line block ×9, first 2 shown]
	s_mov_b32 s23, 0xbfed1bb4
	v_mul_f64_e32 v[155:156], s[20:21], v[91:92]
	v_mul_f64_e32 v[180:181], s[20:21], v[101:102]
	s_wait_alu 0xfffe
	v_mul_f64_e32 v[198:199], s[30:31], v[91:92]
	v_mul_f64_e32 v[200:201], s[22:23], v[101:102]
	;; [unrolled: 1-line block ×3, first 2 shown]
	v_add_f64_e32 v[70:71], v[70:71], v[6:7]
	v_add_f64_e32 v[68:69], v[68:69], v[4:5]
	v_mul_f64_e32 v[117:118], s[26:27], v[89:90]
	v_mul_f64_e32 v[127:128], s[26:27], v[99:100]
	;; [unrolled: 1-line block ×7, first 2 shown]
	s_mov_b32 s16, 0x640f44db
	s_mov_b32 s4, 0xd9c712b6
	;; [unrolled: 1-line block ×6, first 2 shown]
	v_add_f64_e32 v[81:82], v[54:55], v[50:51]
	v_add_f64_e32 v[105:106], v[52:53], v[48:49]
	v_mul_f64_e32 v[135:136], s[30:31], v[87:88]
	v_mul_f64_e32 v[141:142], s[30:31], v[97:98]
	;; [unrolled: 1-line block ×4, first 2 shown]
	v_add_f64_e32 v[62:63], v[62:63], v[75:76]
	v_add_f64_e32 v[60:61], v[60:61], v[77:78]
	v_mul_f64_e32 v[77:78], s[24:25], v[91:92]
	v_mul_f64_e32 v[91:92], s[22:23], v[91:92]
	;; [unrolled: 1-line block ×3, first 2 shown]
	v_fma_f64 v[206:207], v[66:67], s[6:7], v[119:120]
	v_fma_f64 v[216:217], v[64:65], s[6:7], -v[129:130]
	v_fma_f64 v[220:221], v[64:65], s[14:15], -v[145:146]
	v_fma_f64 v[145:146], v[64:65], s[14:15], v[145:146]
	v_fma_f64 v[119:120], v[66:67], s[6:7], -v[119:120]
	v_fma_f64 v[129:130], v[64:65], s[6:7], v[129:130]
	v_mul_f64_e32 v[186:187], s[36:37], v[87:88]
	s_wait_alu 0xfffe
	v_fma_f64 v[222:223], v[66:67], s[16:17], v[155:156]
	v_fma_f64 v[224:225], v[64:65], s[16:17], -v[180:181]
	v_fma_f64 v[155:156], v[66:67], s[16:17], -v[155:156]
	v_fma_f64 v[226:227], v[66:67], s[10:11], v[198:199]
	v_fma_f64 v[198:199], v[66:67], s[10:11], -v[198:199]
	v_fma_f64 v[230:231], v[64:65], s[4:5], v[200:201]
	v_fma_f64 v[180:181], v[64:65], s[16:17], v[180:181]
	;; [unrolled: 1-line block ×3, first 2 shown]
	v_fma_f64 v[214:215], v[68:69], s[10:11], -v[127:128]
	v_fma_f64 v[117:118], v[70:71], s[10:11], -v[117:118]
	v_fma_f64 v[127:128], v[68:69], s[10:11], v[127:128]
	v_fma_f64 v[232:233], v[68:69], s[6:7], -v[178:179]
	v_fma_f64 v[178:179], v[68:69], s[6:7], v[178:179]
	v_fma_f64 v[234:235], v[70:71], s[14:15], v[188:189]
	v_fma_f64 v[236:237], v[68:69], s[14:15], -v[196:197]
	v_fma_f64 v[188:189], v[70:71], s[14:15], -v[188:189]
	v_fma_f64 v[196:197], v[68:69], s[14:15], v[196:197]
	v_mul_f64_e32 v[194:195], s[36:37], v[97:98]
	v_mul_f64_e32 v[87:88], s[20:21], v[87:88]
	;; [unrolled: 1-line block ×9, first 2 shown]
	v_add_f64_e32 v[58:59], v[58:59], v[62:63]
	v_add_f64_e32 v[56:57], v[56:57], v[60:61]
	v_mul_f64_e32 v[60:61], s[22:23], v[89:90]
	v_mul_f64_e32 v[62:63], s[22:23], v[99:100]
	v_fma_f64 v[218:219], v[66:67], s[14:15], v[77:78]
	v_fma_f64 v[77:78], v[66:67], s[14:15], -v[77:78]
	v_fma_f64 v[228:229], v[66:67], s[4:5], -v[91:92]
	v_fma_f64 v[66:67], v[66:67], s[4:5], v[91:92]
	v_fma_f64 v[91:92], v[64:65], s[4:5], -v[200:201]
	v_fma_f64 v[200:201], v[70:71], s[6:7], v[153:154]
	v_fma_f64 v[153:154], v[70:71], s[6:7], -v[153:154]
	v_add_f64_e32 v[145:146], v[40:41], v[145:146]
	v_add_f64_e32 v[119:120], v[42:43], v[119:120]
	;; [unrolled: 1-line block ×4, first 2 shown]
	v_mul_f64_e32 v[83:84], s[24:25], v[83:84]
	v_add_f64_e32 v[198:199], v[42:43], v[198:199]
	v_mul_f64_e32 v[95:96], s[24:25], v[95:96]
	v_add_f64_e32 v[180:181], v[40:41], v[180:181]
	v_fma_f64 v[202:203], v[103:104], s[14:15], v[115:116]
	v_fma_f64 v[212:213], v[109:110], s[14:15], -v[125:126]
	v_fma_f64 v[115:116], v[103:104], s[14:15], -v[115:116]
	v_fma_f64 v[125:126], v[109:110], s[14:15], v[125:126]
	v_mul_f64_e32 v[111:112], s[20:21], v[79:80]
	v_mul_f64_e32 v[121:122], s[20:21], v[93:94]
	;; [unrolled: 1-line block ×7, first 2 shown]
	v_fma_f64 v[242:243], v[103:104], s[16:17], v[87:88]
	v_fma_f64 v[244:245], v[109:110], s[16:17], -v[97:98]
	v_fma_f64 v[87:88], v[103:104], s[16:17], -v[87:88]
	v_fma_f64 v[97:98], v[109:110], s[16:17], v[97:98]
	v_mul_f64_e32 v[93:94], s[28:29], v[93:94]
	v_fma_f64 v[99:100], v[85:86], s[4:5], v[113:114]
	v_fma_f64 v[210:211], v[107:108], s[4:5], -v[123:124]
	v_fma_f64 v[113:114], v[85:86], s[4:5], -v[113:114]
	v_add_f64_e32 v[54:55], v[54:55], v[58:59]
	v_add_f64_e32 v[52:53], v[52:53], v[56:57]
	v_fma_f64 v[56:57], v[64:65], s[10:11], v[101:102]
	v_fma_f64 v[58:59], v[64:65], s[10:11], -v[101:102]
	v_fma_f64 v[64:65], v[70:71], s[16:17], v[75:76]
	v_fma_f64 v[101:102], v[68:69], s[16:17], -v[143:144]
	v_fma_f64 v[75:76], v[70:71], s[16:17], -v[75:76]
	v_fma_f64 v[143:144], v[68:69], s[16:17], v[143:144]
	v_fma_f64 v[238:239], v[70:71], s[4:5], v[60:61]
	v_fma_f64 v[240:241], v[68:69], s[4:5], -v[62:63]
	v_fma_f64 v[60:61], v[70:71], s[4:5], -v[60:61]
	v_fma_f64 v[62:63], v[68:69], s[4:5], v[62:63]
	v_add_f64_e32 v[68:69], v[42:43], v[206:207]
	v_add_f64_e32 v[70:71], v[40:41], v[216:217]
	;; [unrolled: 1-line block ×12, first 2 shown]
	v_fma_f64 v[91:92], v[109:110], s[10:11], v[141:142]
	v_fma_f64 v[228:229], v[103:104], s[6:7], v[186:187]
	v_fma_f64 v[230:231], v[109:110], s[6:7], -v[194:195]
	v_fma_f64 v[186:187], v[103:104], s[6:7], -v[186:187]
	v_fma_f64 v[194:195], v[109:110], s[6:7], v[194:195]
	v_fma_f64 v[123:124], v[107:108], s[4:5], v[123:124]
	;; [unrolled: 1-line block ×3, first 2 shown]
	v_fma_f64 v[208:209], v[105:106], s[16:17], -v[121:122]
	v_fma_f64 v[111:112], v[81:82], s[16:17], -v[111:112]
	v_fma_f64 v[121:122], v[105:106], s[16:17], v[121:122]
	v_add_f64_e32 v[50:51], v[50:51], v[54:55]
	v_add_f64_e32 v[48:49], v[48:49], v[52:53]
	v_add_f64_e32 v[52:53], v[40:41], v[56:57]
	v_add_f64_e32 v[40:41], v[40:41], v[58:59]
	v_fma_f64 v[54:55], v[103:104], s[10:11], v[135:136]
	v_fma_f64 v[56:57], v[109:110], s[10:11], -v[141:142]
	v_fma_f64 v[58:59], v[103:104], s[10:11], -v[135:136]
	v_fma_f64 v[135:136], v[103:104], s[4:5], v[151:152]
	v_fma_f64 v[141:142], v[109:110], s[4:5], -v[176:177]
	v_fma_f64 v[151:152], v[103:104], s[4:5], -v[151:152]
	v_fma_f64 v[176:177], v[109:110], s[4:5], v[176:177]
	v_add_f64_e32 v[103:104], v[117:118], v[119:120]
	v_add_f64_e32 v[109:110], v[127:128], v[129:130]
	;; [unrolled: 1-line block ×18, first 2 shown]
	v_fma_f64 v[178:179], v[85:86], s[16:17], v[184:185]
	v_fma_f64 v[180:181], v[107:108], s[16:17], -v[192:193]
	v_fma_f64 v[184:185], v[85:86], s[16:17], -v[184:185]
	v_fma_f64 v[188:189], v[107:108], s[16:17], v[192:193]
	v_fma_f64 v[192:193], v[85:86], s[14:15], v[83:84]
	v_fma_f64 v[196:197], v[107:108], s[14:15], -v[95:96]
	v_fma_f64 v[83:84], v[85:86], s[14:15], -v[83:84]
	;; [unrolled: 1-line block ×3, first 2 shown]
	v_fma_f64 v[174:175], v[107:108], s[10:11], v[174:175]
	v_add_f64_e32 v[46:47], v[46:47], v[50:51]
	v_add_f64_e32 v[44:45], v[44:45], v[48:49]
	;; [unrolled: 1-line block ×4, first 2 shown]
	v_fma_f64 v[50:51], v[85:86], s[6:7], v[133:134]
	v_fma_f64 v[52:53], v[107:108], s[6:7], -v[139:140]
	v_fma_f64 v[62:63], v[85:86], s[6:7], -v[133:134]
	v_fma_f64 v[133:134], v[107:108], s[6:7], v[139:140]
	v_fma_f64 v[139:140], v[85:86], s[10:11], v[149:150]
	v_fma_f64 v[149:150], v[85:86], s[10:11], -v[149:150]
	v_fma_f64 v[85:86], v[107:108], s[14:15], v[95:96]
	v_add_f64_e32 v[95:96], v[115:116], v[103:104]
	v_add_f64_e32 v[103:104], v[125:126], v[109:110]
	;; [unrolled: 1-line block ×18, first 2 shown]
	v_fma_f64 v[115:116], v[105:106], s[4:5], v[137:138]
	v_fma_f64 v[117:118], v[81:82], s[14:15], v[147:148]
	v_fma_f64 v[125:126], v[81:82], s[14:15], -v[147:148]
	v_fma_f64 v[129:130], v[81:82], s[10:11], v[182:183]
	v_fma_f64 v[135:136], v[81:82], s[10:11], -v[182:183]
	;; [unrolled: 2-line block ×3, first 2 shown]
	v_fma_f64 v[79:80], v[81:82], s[6:7], -v[79:80]
	v_fma_f64 v[127:128], v[105:106], s[14:15], v[172:173]
	v_add_f64_e32 v[10:11], v[10:11], v[46:47]
	v_add_f64_e32 v[8:9], v[8:9], v[44:45]
	;; [unrolled: 1-line block ×4, first 2 shown]
	v_fma_f64 v[46:47], v[81:82], s[4:5], v[131:132]
	v_fma_f64 v[97:98], v[81:82], s[4:5], -v[131:132]
	v_fma_f64 v[81:82], v[105:106], s[6:7], v[93:94]
	v_fma_f64 v[48:49], v[105:106], s[4:5], -v[137:138]
	;; [unrolled: 2-line block ×3, first 2 shown]
	v_fma_f64 v[131:132], v[105:106], s[10:11], -v[190:191]
	v_add_f64_e32 v[93:94], v[113:114], v[95:96]
	v_add_f64_e32 v[95:96], v[123:124], v[103:104]
	;; [unrolled: 1-line block ×40, first 2 shown]
	v_and_b32_e32 v75, 0xffff, v171
	s_delay_alu instid0(VALU_DEP_1)
	v_lshl_add_u32 v75, v75, 4, v170
	v_add_f64_e32 v[2:3], v[2:3], v[101:102]
	v_add_f64_e32 v[0:1], v[0:1], v[103:104]
	;; [unrolled: 1-line block ×4, first 2 shown]
	ds_store_b128 v75, v[44:47] offset:64
	ds_store_b128 v75, v[8:11] offset:80
	;; [unrolled: 1-line block ×8, first 2 shown]
	ds_store_b128 v75, v[0:3]
	ds_store_b128 v75, v[60:63] offset:16
	ds_store_b128 v75, v[56:59] offset:160
.LBB0_13:
	s_wait_alu 0xfffe
	s_or_b32 exec_lo, exec_lo, s18
	global_wb scope:SCOPE_SE
	s_wait_dscnt 0x0
	s_barrier_signal -1
	s_barrier_wait -1
	global_inv scope:SCOPE_SE
	ds_load_b128 v[0:3], v74 offset:176
	ds_load_b128 v[4:7], v74 offset:352
	;; [unrolled: 1-line block ×7, first 2 shown]
	s_mov_b32 s4, 0x667f3bcd
	s_mov_b32 s5, 0xbfe6a09e
	;; [unrolled: 1-line block ×3, first 2 shown]
	s_wait_alu 0xfffe
	s_mov_b32 s6, s4
	s_wait_dscnt 0x6
	v_mul_f64_e32 v[56:57], v[22:23], v[2:3]
	v_mul_f64_e32 v[22:23], v[22:23], v[0:1]
	s_wait_dscnt 0x5
	v_mul_f64_e32 v[58:59], v[18:19], v[6:7]
	v_mul_f64_e32 v[18:19], v[18:19], v[4:5]
	;; [unrolled: 3-line block ×7, first 2 shown]
	v_fma_f64 v[56:57], v[20:21], v[0:1], v[56:57]
	v_fma_f64 v[20:21], v[20:21], v[2:3], -v[22:23]
	v_fma_f64 v[4:5], v[16:17], v[4:5], v[58:59]
	v_fma_f64 v[6:7], v[16:17], v[6:7], -v[18:19]
	;; [unrolled: 2-line block ×7, first 2 shown]
	ds_load_b128 v[0:3], v74
	s_wait_dscnt 0x0
	v_add_f64_e64 v[8:9], v[0:1], -v[8:9]
	v_add_f64_e64 v[10:11], v[2:3], -v[10:11]
	;; [unrolled: 1-line block ×8, first 2 shown]
	v_fma_f64 v[0:1], v[0:1], 2.0, -v[8:9]
	v_fma_f64 v[2:3], v[2:3], 2.0, -v[10:11]
	;; [unrolled: 1-line block ×6, first 2 shown]
	v_add_f64_e32 v[32:33], v[8:9], v[14:15]
	v_add_f64_e64 v[34:35], v[10:11], -v[12:13]
	v_fma_f64 v[12:13], v[22:23], 2.0, -v[26:27]
	v_fma_f64 v[14:15], v[24:25], 2.0, -v[28:29]
	v_add_f64_e32 v[22:23], v[16:17], v[28:29]
	v_add_f64_e64 v[24:25], v[18:19], -v[26:27]
	v_add_f64_e64 v[26:27], v[0:1], -v[4:5]
	;; [unrolled: 1-line block ×3, first 2 shown]
	v_fma_f64 v[36:37], v[8:9], 2.0, -v[32:33]
	v_fma_f64 v[38:39], v[10:11], 2.0, -v[34:35]
	v_add_f64_e64 v[4:5], v[30:31], -v[12:13]
	v_add_f64_e64 v[6:7], v[20:21], -v[14:15]
	v_fma_f64 v[14:15], v[16:17], 2.0, -v[22:23]
	v_fma_f64 v[12:13], v[18:19], 2.0, -v[24:25]
	s_wait_alu 0xfffe
	v_fma_f64 v[8:9], v[22:23], s[6:7], v[32:33]
	v_fma_f64 v[10:11], v[24:25], s[6:7], v[34:35]
	v_fma_f64 v[40:41], v[0:1], 2.0, -v[26:27]
	v_fma_f64 v[42:43], v[2:3], 2.0, -v[28:29]
	;; [unrolled: 1-line block ×4, first 2 shown]
	v_fma_f64 v[20:21], v[14:15], s[4:5], v[36:37]
	v_fma_f64 v[30:31], v[12:13], s[4:5], v[38:39]
	v_add_f64_e32 v[0:1], v[26:27], v[6:7]
	v_add_f64_e64 v[2:3], v[28:29], -v[4:5]
	v_fma_f64 v[4:5], v[24:25], s[6:7], v[8:9]
	v_fma_f64 v[6:7], v[22:23], s[4:5], v[10:11]
	v_add_f64_e64 v[8:9], v[40:41], -v[16:17]
	v_add_f64_e64 v[10:11], v[42:43], -v[18:19]
	v_fma_f64 v[12:13], v[12:13], s[6:7], v[20:21]
	v_fma_f64 v[14:15], v[14:15], s[4:5], v[30:31]
	v_fma_f64 v[16:17], v[26:27], 2.0, -v[0:1]
	v_fma_f64 v[18:19], v[28:29], 2.0, -v[2:3]
	;; [unrolled: 1-line block ×8, first 2 shown]
	ds_store_b128 v73, v[0:3] offset:1056
	ds_store_b128 v73, v[4:7] offset:1232
	;; [unrolled: 1-line block ×6, first 2 shown]
	ds_store_b128 v73, v[24:27]
	ds_store_b128 v73, v[28:31] offset:176
	global_wb scope:SCOPE_SE
	s_wait_dscnt 0x0
	s_barrier_signal -1
	s_barrier_wait -1
	global_inv scope:SCOPE_SE
	s_and_b32 exec_lo, exec_lo, vcc_lo
	s_cbranch_execz .LBB0_15
; %bb.14:
	s_clause 0xa
	global_load_b128 v[0:3], v168, s[12:13]
	global_load_b128 v[4:7], v168, s[12:13] offset:128
	global_load_b128 v[8:11], v168, s[12:13] offset:256
	;; [unrolled: 1-line block ×10, first 2 shown]
	ds_load_b128 v[44:47], v169
	ds_load_b128 v[48:51], v73 offset:128
	ds_load_b128 v[52:55], v73 offset:256
	;; [unrolled: 1-line block ×8, first 2 shown]
	v_mad_co_u64_u32 v[90:91], null, s2, v72, 0
	v_mad_co_u64_u32 v[92:93], null, s0, v157, 0
	;; [unrolled: 1-line block ×12, first 2 shown]
	ds_load_b128 v[82:85], v73 offset:1152
	ds_load_b128 v[86:89], v73 offset:1280
	v_mov_b32_e32 v73, v91
	v_mov_b32_e32 v91, v93
	v_mov_b32_e32 v93, v95
	v_mov_b32_e32 v95, v97
	v_mov_b32_e32 v97, v99
	v_mov_b32_e32 v99, v101
	v_mov_b32_e32 v101, v103
	v_mov_b32_e32 v103, v105
	v_mov_b32_e32 v105, v107
	v_mov_b32_e32 v107, v109
	v_mov_b32_e32 v109, v111
	v_mov_b32_e32 v111, v113
	v_mad_co_u64_u32 v[113:114], null, s1, v157, v[91:92]
	v_mad_co_u64_u32 v[114:115], null, s1, v158, v[93:94]
	;; [unrolled: 1-line block ×5, first 2 shown]
	s_wait_dscnt 0x3
	v_mad_co_u64_u32 v[72:73], null, s3, v72, v[73:74]
	v_mad_co_u64_u32 v[118:119], null, s1, v162, v[101:102]
	;; [unrolled: 1-line block ×7, first 2 shown]
	v_mov_b32_e32 v91, v72
	v_mov_b32_e32 v95, v114
	;; [unrolled: 1-line block ×12, first 2 shown]
	v_lshlrev_b64_e32 v[90:91], 4, v[90:91]
	s_mov_b32 s4, 0x745d1746
	s_mov_b32 s5, 0x3f8745d1
	v_lshlrev_b64_e32 v[92:93], 4, v[92:93]
	v_lshlrev_b64_e32 v[94:95], 4, v[94:95]
	;; [unrolled: 1-line block ×3, first 2 shown]
	v_add_co_u32 v90, vcc_lo, s8, v90
	v_add_co_ci_u32_e32 v91, vcc_lo, s9, v91, vcc_lo
	v_lshlrev_b64_e32 v[98:99], 4, v[98:99]
	v_lshlrev_b64_e32 v[100:101], 4, v[100:101]
	;; [unrolled: 1-line block ×8, first 2 shown]
	s_wait_loadcnt 0xa
	v_mul_f64_e32 v[72:73], v[46:47], v[2:3]
	v_mul_f64_e32 v[2:3], v[44:45], v[2:3]
	s_wait_loadcnt 0x9
	v_mul_f64_e32 v[114:115], v[50:51], v[6:7]
	v_mul_f64_e32 v[6:7], v[48:49], v[6:7]
	;; [unrolled: 3-line block ×8, first 2 shown]
	s_wait_loadcnt_dscnt 0x202
	v_mul_f64_e32 v[128:129], v[80:81], v[34:35]
	v_mul_f64_e32 v[34:35], v[78:79], v[34:35]
	s_wait_loadcnt_dscnt 0x101
	v_mul_f64_e32 v[130:131], v[84:85], v[38:39]
	v_mul_f64_e32 v[38:39], v[82:83], v[38:39]
	;; [unrolled: 3-line block ×3, first 2 shown]
	v_fma_f64 v[44:45], v[44:45], v[0:1], v[72:73]
	v_fma_f64 v[2:3], v[0:1], v[46:47], -v[2:3]
	v_fma_f64 v[46:47], v[48:49], v[4:5], v[114:115]
	v_fma_f64 v[6:7], v[4:5], v[50:51], -v[6:7]
	;; [unrolled: 2-line block ×11, first 2 shown]
	v_add_co_u32 v66, vcc_lo, v90, v92
	s_wait_alu 0xfffd
	v_add_co_ci_u32_e32 v67, vcc_lo, v91, v93, vcc_lo
	v_add_co_u32 v68, vcc_lo, v90, v94
	s_wait_alu 0xfffd
	v_add_co_ci_u32_e32 v69, vcc_lo, v91, v95, vcc_lo
	;; [unrolled: 3-line block ×4, first 2 shown]
	s_wait_alu 0xfffe
	v_mul_f64_e32 v[0:1], s[4:5], v[44:45]
	v_mul_f64_e32 v[2:3], s[4:5], v[2:3]
	;; [unrolled: 1-line block ×22, first 2 shown]
	v_add_co_u32 v44, vcc_lo, v90, v100
	s_wait_alu 0xfffd
	v_add_co_ci_u32_e32 v45, vcc_lo, v91, v101, vcc_lo
	v_add_co_u32 v46, vcc_lo, v90, v102
	s_wait_alu 0xfffd
	v_add_co_ci_u32_e32 v47, vcc_lo, v91, v103, vcc_lo
	;; [unrolled: 3-line block ×7, first 2 shown]
	s_clause 0xa
	global_store_b128 v[66:67], v[0:3], off
	global_store_b128 v[68:69], v[4:7], off
	;; [unrolled: 1-line block ×11, first 2 shown]
.LBB0_15:
	s_nop 0
	s_sendmsg sendmsg(MSG_DEALLOC_VGPRS)
	s_endpgm
	.section	.rodata,"a",@progbits
	.p2align	6, 0x0
	.amdhsa_kernel bluestein_single_fwd_len88_dim1_dp_op_CI_CI
		.amdhsa_group_segment_fixed_size 15488
		.amdhsa_private_segment_fixed_size 0
		.amdhsa_kernarg_size 104
		.amdhsa_user_sgpr_count 2
		.amdhsa_user_sgpr_dispatch_ptr 0
		.amdhsa_user_sgpr_queue_ptr 0
		.amdhsa_user_sgpr_kernarg_segment_ptr 1
		.amdhsa_user_sgpr_dispatch_id 0
		.amdhsa_user_sgpr_private_segment_size 0
		.amdhsa_wavefront_size32 1
		.amdhsa_uses_dynamic_stack 0
		.amdhsa_enable_private_segment 0
		.amdhsa_system_sgpr_workgroup_id_x 1
		.amdhsa_system_sgpr_workgroup_id_y 0
		.amdhsa_system_sgpr_workgroup_id_z 0
		.amdhsa_system_sgpr_workgroup_info 0
		.amdhsa_system_vgpr_workitem_id 0
		.amdhsa_next_free_vgpr 246
		.amdhsa_next_free_sgpr 40
		.amdhsa_reserve_vcc 1
		.amdhsa_float_round_mode_32 0
		.amdhsa_float_round_mode_16_64 0
		.amdhsa_float_denorm_mode_32 3
		.amdhsa_float_denorm_mode_16_64 3
		.amdhsa_fp16_overflow 0
		.amdhsa_workgroup_processor_mode 1
		.amdhsa_memory_ordered 1
		.amdhsa_forward_progress 0
		.amdhsa_round_robin_scheduling 0
		.amdhsa_exception_fp_ieee_invalid_op 0
		.amdhsa_exception_fp_denorm_src 0
		.amdhsa_exception_fp_ieee_div_zero 0
		.amdhsa_exception_fp_ieee_overflow 0
		.amdhsa_exception_fp_ieee_underflow 0
		.amdhsa_exception_fp_ieee_inexact 0
		.amdhsa_exception_int_div_zero 0
	.end_amdhsa_kernel
	.text
.Lfunc_end0:
	.size	bluestein_single_fwd_len88_dim1_dp_op_CI_CI, .Lfunc_end0-bluestein_single_fwd_len88_dim1_dp_op_CI_CI
                                        ; -- End function
	.section	.AMDGPU.csdata,"",@progbits
; Kernel info:
; codeLenInByte = 9636
; NumSgprs: 42
; NumVgprs: 246
; ScratchSize: 0
; MemoryBound: 0
; FloatMode: 240
; IeeeMode: 1
; LDSByteSize: 15488 bytes/workgroup (compile time only)
; SGPRBlocks: 5
; VGPRBlocks: 30
; NumSGPRsForWavesPerEU: 42
; NumVGPRsForWavesPerEU: 246
; Occupancy: 5
; WaveLimiterHint : 1
; COMPUTE_PGM_RSRC2:SCRATCH_EN: 0
; COMPUTE_PGM_RSRC2:USER_SGPR: 2
; COMPUTE_PGM_RSRC2:TRAP_HANDLER: 0
; COMPUTE_PGM_RSRC2:TGID_X_EN: 1
; COMPUTE_PGM_RSRC2:TGID_Y_EN: 0
; COMPUTE_PGM_RSRC2:TGID_Z_EN: 0
; COMPUTE_PGM_RSRC2:TIDIG_COMP_CNT: 0
	.text
	.p2alignl 7, 3214868480
	.fill 96, 4, 3214868480
	.type	__hip_cuid_ba033ef2ff84bb08,@object ; @__hip_cuid_ba033ef2ff84bb08
	.section	.bss,"aw",@nobits
	.globl	__hip_cuid_ba033ef2ff84bb08
__hip_cuid_ba033ef2ff84bb08:
	.byte	0                               ; 0x0
	.size	__hip_cuid_ba033ef2ff84bb08, 1

	.ident	"AMD clang version 19.0.0git (https://github.com/RadeonOpenCompute/llvm-project roc-6.4.0 25133 c7fe45cf4b819c5991fe208aaa96edf142730f1d)"
	.section	".note.GNU-stack","",@progbits
	.addrsig
	.addrsig_sym __hip_cuid_ba033ef2ff84bb08
	.amdgpu_metadata
---
amdhsa.kernels:
  - .args:
      - .actual_access:  read_only
        .address_space:  global
        .offset:         0
        .size:           8
        .value_kind:     global_buffer
      - .actual_access:  read_only
        .address_space:  global
        .offset:         8
        .size:           8
        .value_kind:     global_buffer
      - .actual_access:  read_only
        .address_space:  global
        .offset:         16
        .size:           8
        .value_kind:     global_buffer
      - .actual_access:  read_only
        .address_space:  global
        .offset:         24
        .size:           8
        .value_kind:     global_buffer
      - .actual_access:  read_only
        .address_space:  global
        .offset:         32
        .size:           8
        .value_kind:     global_buffer
      - .offset:         40
        .size:           8
        .value_kind:     by_value
      - .address_space:  global
        .offset:         48
        .size:           8
        .value_kind:     global_buffer
      - .address_space:  global
        .offset:         56
        .size:           8
        .value_kind:     global_buffer
      - .address_space:  global
        .offset:         64
        .size:           8
        .value_kind:     global_buffer
      - .address_space:  global
        .offset:         72
        .size:           8
        .value_kind:     global_buffer
      - .offset:         80
        .size:           4
        .value_kind:     by_value
      - .address_space:  global
        .offset:         88
        .size:           8
        .value_kind:     global_buffer
      - .address_space:  global
        .offset:         96
        .size:           8
        .value_kind:     global_buffer
    .group_segment_fixed_size: 15488
    .kernarg_segment_align: 8
    .kernarg_segment_size: 104
    .language:       OpenCL C
    .language_version:
      - 2
      - 0
    .max_flat_workgroup_size: 121
    .name:           bluestein_single_fwd_len88_dim1_dp_op_CI_CI
    .private_segment_fixed_size: 0
    .sgpr_count:     42
    .sgpr_spill_count: 0
    .symbol:         bluestein_single_fwd_len88_dim1_dp_op_CI_CI.kd
    .uniform_work_group_size: 1
    .uses_dynamic_stack: false
    .vgpr_count:     246
    .vgpr_spill_count: 0
    .wavefront_size: 32
    .workgroup_processor_mode: 1
amdhsa.target:   amdgcn-amd-amdhsa--gfx1201
amdhsa.version:
  - 1
  - 2
...

	.end_amdgpu_metadata
